;; amdgpu-corpus repo=ROCm/rocFFT kind=compiled arch=gfx906 opt=O3
	.text
	.amdgcn_target "amdgcn-amd-amdhsa--gfx906"
	.amdhsa_code_object_version 6
	.protected	fft_rtc_fwd_len96_factors_8_3_4_wgs_256_tpt_32_half_ip_CI_sbcc_twdbase6_3step_dirReg ; -- Begin function fft_rtc_fwd_len96_factors_8_3_4_wgs_256_tpt_32_half_ip_CI_sbcc_twdbase6_3step_dirReg
	.globl	fft_rtc_fwd_len96_factors_8_3_4_wgs_256_tpt_32_half_ip_CI_sbcc_twdbase6_3step_dirReg
	.p2align	8
	.type	fft_rtc_fwd_len96_factors_8_3_4_wgs_256_tpt_32_half_ip_CI_sbcc_twdbase6_3step_dirReg,@function
fft_rtc_fwd_len96_factors_8_3_4_wgs_256_tpt_32_half_ip_CI_sbcc_twdbase6_3step_dirReg: ; @fft_rtc_fwd_len96_factors_8_3_4_wgs_256_tpt_32_half_ip_CI_sbcc_twdbase6_3step_dirReg
; %bb.0:
	s_load_dwordx8 s[8:15], s[4:5], 0x8
	s_movk_i32 s0, 0xbf
	v_cmp_lt_u32_e64 s[2:3], s0, v0
	s_movk_i32 s0, 0xc0
	v_cmp_gt_u32_e64 s[0:1], s0, v0
	s_and_saveexec_b64 s[16:17], s[0:1]
	s_cbranch_execz .LBB0_2
; %bb.1:
	v_lshlrev_b32_e32 v1, 2, v0
	s_waitcnt lgkmcnt(0)
	global_load_dword v2, v1, s[8:9]
	v_add_u32_e32 v1, 0, v1
	s_waitcnt vmcnt(0)
	ds_write_b32 v1, v2 offset:3072
.LBB0_2:
	s_or_b64 exec, exec, s[16:17]
	s_waitcnt lgkmcnt(0)
	s_load_dwordx2 s[8:9], s[12:13], 0x8
	s_mov_b32 s7, 0
	s_mov_b64 s[28:29], 0
	s_waitcnt lgkmcnt(0)
	s_add_u32 s16, s8, -1
	s_addc_u32 s17, s9, -1
	s_lshr_b64 s[16:17], s[16:17], 3
	s_add_u32 s26, s16, 1
	s_addc_u32 s27, s17, 0
	v_mov_b32_e32 v1, s26
	v_mov_b32_e32 v2, s27
	v_cmp_lt_u64_e32 vcc, s[6:7], v[1:2]
	s_cbranch_vccnz .LBB0_4
; %bb.3:
	v_cvt_f32_u32_e32 v1, s26
	s_sub_i32 s16, 0, s26
	s_mov_b32 s29, s7
	v_rcp_iflag_f32_e32 v1, v1
	v_mul_f32_e32 v1, 0x4f7ffffe, v1
	v_cvt_u32_f32_e32 v1, v1
	v_readfirstlane_b32 s17, v1
	s_mul_i32 s16, s16, s17
	s_mul_hi_u32 s16, s17, s16
	s_add_i32 s17, s17, s16
	s_mul_hi_u32 s16, s6, s17
	s_mul_i32 s18, s16, s26
	s_sub_i32 s18, s6, s18
	s_add_i32 s17, s16, 1
	s_sub_i32 s19, s18, s26
	s_cmp_ge_u32 s18, s26
	s_cselect_b32 s16, s17, s16
	s_cselect_b32 s18, s19, s18
	s_add_i32 s17, s16, 1
	s_cmp_ge_u32 s18, s26
	s_cselect_b32 s28, s17, s16
.LBB0_4:
	s_load_dwordx2 s[20:21], s[4:5], 0x58
	s_load_dwordx2 s[22:23], s[4:5], 0x0
	s_load_dwordx4 s[16:19], s[14:15], 0x0
	s_mul_i32 s4, s28, s27
	s_mul_hi_u32 s5, s28, s26
	s_add_i32 s5, s5, s4
	s_mul_i32 s4, s28, s26
	s_sub_u32 s4, s6, s4
	s_subb_u32 s5, 0, s5
	v_mov_b32_e32 v1, s4
	v_alignbit_b32 v1, s5, v1, 29
	s_lshl_b64 s[24:25], s[4:5], 3
	v_readfirstlane_b32 s4, v1
	s_waitcnt lgkmcnt(0)
	s_mul_i32 s4, s18, s4
	s_mul_hi_u32 s5, s18, s24
	s_add_i32 s4, s5, s4
	s_mul_i32 s5, s19, s24
	s_add_i32 s33, s4, s5
	v_cmp_lt_u64_e64 s[4:5], s[10:11], 3
	s_mul_i32 s42, s18, s24
	s_and_b64 vcc, exec, s[4:5]
	s_cbranch_vccnz .LBB0_14
; %bb.5:
	s_add_u32 s30, s14, 16
	s_addc_u32 s31, s15, 0
	s_add_u32 s12, s12, 16
	v_mov_b32_e32 v1, s10
	s_addc_u32 s13, s13, 0
	s_mov_b64 s[34:35], 2
	s_mov_b32 s36, 0
	v_mov_b32_e32 v2, s11
.LBB0_6:                                ; =>This Inner Loop Header: Depth=1
	s_load_dwordx2 s[38:39], s[12:13], 0x0
	s_waitcnt lgkmcnt(0)
	s_or_b64 s[4:5], s[28:29], s[38:39]
	s_mov_b32 s37, s5
	s_cmp_lg_u64 s[36:37], 0
	s_cbranch_scc0 .LBB0_11
; %bb.7:                                ;   in Loop: Header=BB0_6 Depth=1
	v_cvt_f32_u32_e32 v3, s38
	v_cvt_f32_u32_e32 v4, s39
	s_sub_u32 s4, 0, s38
	s_subb_u32 s5, 0, s39
	v_mac_f32_e32 v3, 0x4f800000, v4
	v_rcp_f32_e32 v3, v3
	v_mul_f32_e32 v3, 0x5f7ffffc, v3
	v_mul_f32_e32 v4, 0x2f800000, v3
	v_trunc_f32_e32 v4, v4
	v_mac_f32_e32 v3, 0xcf800000, v4
	v_cvt_u32_f32_e32 v4, v4
	v_cvt_u32_f32_e32 v3, v3
	v_readfirstlane_b32 s37, v4
	v_readfirstlane_b32 s40, v3
	s_mul_i32 s41, s4, s37
	s_mul_hi_u32 s44, s4, s40
	s_mul_i32 s43, s5, s40
	s_add_i32 s41, s44, s41
	s_mul_i32 s45, s4, s40
	s_add_i32 s41, s41, s43
	s_mul_hi_u32 s43, s40, s41
	s_mul_i32 s44, s40, s41
	s_mul_hi_u32 s40, s40, s45
	s_add_u32 s40, s40, s44
	s_addc_u32 s43, 0, s43
	s_mul_hi_u32 s46, s37, s45
	s_mul_i32 s45, s37, s45
	s_add_u32 s40, s40, s45
	s_mul_hi_u32 s44, s37, s41
	s_addc_u32 s40, s43, s46
	s_addc_u32 s43, s44, 0
	s_mul_i32 s41, s37, s41
	s_add_u32 s40, s40, s41
	s_addc_u32 s41, 0, s43
	v_add_co_u32_e32 v3, vcc, s40, v3
	s_cmp_lg_u64 vcc, 0
	s_addc_u32 s37, s37, s41
	v_readfirstlane_b32 s41, v3
	s_mul_i32 s40, s4, s37
	s_mul_hi_u32 s43, s4, s41
	s_add_i32 s40, s43, s40
	s_mul_i32 s5, s5, s41
	s_add_i32 s40, s40, s5
	s_mul_i32 s4, s4, s41
	s_mul_hi_u32 s43, s37, s4
	s_mul_i32 s44, s37, s4
	s_mul_i32 s46, s41, s40
	s_mul_hi_u32 s4, s41, s4
	s_mul_hi_u32 s45, s41, s40
	s_add_u32 s4, s4, s46
	s_addc_u32 s41, 0, s45
	s_add_u32 s4, s4, s44
	s_mul_hi_u32 s5, s37, s40
	s_addc_u32 s4, s41, s43
	s_addc_u32 s5, s5, 0
	s_mul_i32 s40, s37, s40
	s_add_u32 s4, s4, s40
	s_addc_u32 s5, 0, s5
	v_add_co_u32_e32 v3, vcc, s4, v3
	s_cmp_lg_u64 vcc, 0
	s_addc_u32 s4, s37, s5
	v_readfirstlane_b32 s40, v3
	s_mul_i32 s37, s28, s4
	s_mul_hi_u32 s41, s28, s40
	s_mul_hi_u32 s5, s28, s4
	s_add_u32 s37, s41, s37
	s_addc_u32 s5, 0, s5
	s_mul_hi_u32 s43, s29, s40
	s_mul_i32 s40, s29, s40
	s_add_u32 s37, s37, s40
	s_mul_hi_u32 s41, s29, s4
	s_addc_u32 s5, s5, s43
	s_addc_u32 s37, s41, 0
	s_mul_i32 s4, s29, s4
	s_add_u32 s40, s5, s4
	s_addc_u32 s37, 0, s37
	s_mul_i32 s4, s38, s37
	s_mul_hi_u32 s5, s38, s40
	s_add_i32 s4, s5, s4
	s_mul_i32 s5, s39, s40
	s_add_i32 s41, s4, s5
	s_mul_i32 s5, s38, s40
	v_mov_b32_e32 v3, s5
	s_sub_i32 s4, s29, s41
	v_sub_co_u32_e32 v3, vcc, s28, v3
	s_cmp_lg_u64 vcc, 0
	s_subb_u32 s43, s4, s39
	v_subrev_co_u32_e64 v4, s[4:5], s38, v3
	s_cmp_lg_u64 s[4:5], 0
	s_subb_u32 s4, s43, 0
	s_cmp_ge_u32 s4, s39
	v_readfirstlane_b32 s43, v4
	s_cselect_b32 s5, -1, 0
	s_cmp_ge_u32 s43, s38
	s_cselect_b32 s43, -1, 0
	s_cmp_eq_u32 s4, s39
	s_cselect_b32 s4, s43, s5
	s_add_u32 s5, s40, 1
	s_addc_u32 s43, s37, 0
	s_add_u32 s44, s40, 2
	s_addc_u32 s45, s37, 0
	s_cmp_lg_u32 s4, 0
	s_cselect_b32 s4, s44, s5
	s_cselect_b32 s5, s45, s43
	s_cmp_lg_u64 vcc, 0
	s_subb_u32 s41, s29, s41
	s_cmp_ge_u32 s41, s39
	v_readfirstlane_b32 s44, v3
	s_cselect_b32 s43, -1, 0
	s_cmp_ge_u32 s44, s38
	s_cselect_b32 s44, -1, 0
	s_cmp_eq_u32 s41, s39
	s_cselect_b32 s41, s44, s43
	s_cmp_lg_u32 s41, 0
	s_cselect_b32 s5, s5, s37
	s_cselect_b32 s4, s4, s40
	s_cbranch_execnz .LBB0_9
.LBB0_8:                                ;   in Loop: Header=BB0_6 Depth=1
	v_cvt_f32_u32_e32 v3, s38
	s_sub_i32 s4, 0, s38
	v_rcp_iflag_f32_e32 v3, v3
	v_mul_f32_e32 v3, 0x4f7ffffe, v3
	v_cvt_u32_f32_e32 v3, v3
	v_readfirstlane_b32 s5, v3
	s_mul_i32 s4, s4, s5
	s_mul_hi_u32 s4, s5, s4
	s_add_i32 s5, s5, s4
	s_mul_hi_u32 s4, s28, s5
	s_mul_i32 s37, s4, s38
	s_sub_i32 s37, s28, s37
	s_add_i32 s5, s4, 1
	s_sub_i32 s40, s37, s38
	s_cmp_ge_u32 s37, s38
	s_cselect_b32 s4, s5, s4
	s_cselect_b32 s37, s40, s37
	s_add_i32 s5, s4, 1
	s_cmp_ge_u32 s37, s38
	s_cselect_b32 s4, s5, s4
	s_mov_b32 s5, s36
.LBB0_9:                                ;   in Loop: Header=BB0_6 Depth=1
	s_mul_i32 s27, s38, s27
	s_mul_hi_u32 s37, s38, s26
	s_add_i32 s27, s37, s27
	s_mul_i32 s37, s39, s26
	s_add_i32 s27, s27, s37
	s_mul_i32 s37, s4, s39
	s_mul_hi_u32 s39, s4, s38
	s_load_dwordx2 s[40:41], s[30:31], 0x0
	s_add_i32 s37, s39, s37
	s_mul_i32 s39, s5, s38
	s_mul_i32 s26, s38, s26
	s_add_i32 s37, s37, s39
	s_mul_i32 s38, s4, s38
	s_sub_u32 s28, s28, s38
	s_subb_u32 s29, s29, s37
	s_waitcnt lgkmcnt(0)
	s_mul_i32 s29, s40, s29
	s_mul_hi_u32 s37, s40, s28
	s_add_i32 s29, s37, s29
	s_mul_i32 s37, s41, s28
	s_add_i32 s29, s29, s37
	s_mul_i32 s28, s40, s28
	s_add_u32 s42, s28, s42
	s_addc_u32 s33, s29, s33
	s_add_u32 s34, s34, 1
	s_addc_u32 s35, s35, 0
	;; [unrolled: 2-line block ×3, first 2 shown]
	v_cmp_ge_u64_e32 vcc, s[34:35], v[1:2]
	s_add_u32 s12, s12, 8
	s_addc_u32 s13, s13, 0
	s_cbranch_vccnz .LBB0_12
; %bb.10:                               ;   in Loop: Header=BB0_6 Depth=1
	s_mov_b64 s[28:29], s[4:5]
	s_branch .LBB0_6
.LBB0_11:                               ;   in Loop: Header=BB0_6 Depth=1
                                        ; implicit-def: $sgpr4_sgpr5
	s_branch .LBB0_8
.LBB0_12:
	v_mov_b32_e32 v1, s26
	v_mov_b32_e32 v2, s27
	v_cmp_lt_u64_e32 vcc, s[6:7], v[1:2]
	s_mov_b64 s[28:29], 0
	s_cbranch_vccnz .LBB0_14
; %bb.13:
	v_cvt_f32_u32_e32 v1, s26
	s_sub_i32 s4, 0, s26
	v_rcp_iflag_f32_e32 v1, v1
	v_mul_f32_e32 v1, 0x4f7ffffe, v1
	v_cvt_u32_f32_e32 v1, v1
	v_readfirstlane_b32 s5, v1
	s_mul_i32 s4, s4, s5
	s_mul_hi_u32 s4, s5, s4
	s_add_i32 s5, s5, s4
	s_mul_hi_u32 s4, s6, s5
	s_mul_i32 s7, s4, s26
	s_sub_i32 s6, s6, s7
	s_add_i32 s5, s4, 1
	s_sub_i32 s7, s6, s26
	s_cmp_ge_u32 s6, s26
	s_cselect_b32 s4, s5, s4
	s_cselect_b32 s6, s7, s6
	s_add_i32 s5, s4, 1
	s_cmp_ge_u32 s6, s26
	s_cselect_b32 s28, s5, s4
.LBB0_14:
	s_lshl_b64 s[4:5], s[10:11], 3
	s_add_u32 s4, s14, s4
	s_addc_u32 s5, s15, s5
	s_load_dwordx2 s[4:5], s[4:5], 0x0
	v_mov_b32_e32 v1, s8
	v_mov_b32_e32 v2, s9
	v_lshrrev_b32_e32 v6, 3, v0
	v_and_b32_e32 v8, 7, v0
	s_waitcnt lgkmcnt(0)
	s_mul_i32 s5, s5, s28
	s_mul_hi_u32 s6, s4, s28
	s_mul_i32 s4, s4, s28
	s_add_i32 s6, s6, s5
	s_add_u32 s10, s4, s42
	s_addc_u32 s11, s6, s33
	s_add_u32 s4, s24, 8
	s_addc_u32 s5, s25, 0
	v_cmp_le_u64_e32 vcc, s[4:5], v[1:2]
	s_movk_i32 s4, 0x60
	v_cmp_gt_u32_e64 s[6:7], s4, v0
	s_and_b64 s[4:5], s[6:7], vcc
	v_add_u32_e32 v9, 12, v6
	v_add_u32_e32 v7, 24, v6
	;; [unrolled: 1-line block ×3, first 2 shown]
	v_or_b32_e32 v4, 48, v6
	v_add_u32_e32 v3, 60, v6
                                        ; implicit-def: $vgpr10
                                        ; implicit-def: $vgpr14
                                        ; implicit-def: $vgpr12
                                        ; implicit-def: $vgpr16
                                        ; implicit-def: $vgpr11
                                        ; implicit-def: $vgpr15
                                        ; implicit-def: $vgpr13
                                        ; implicit-def: $vgpr17
	s_and_saveexec_b64 s[12:13], s[4:5]
	s_cbranch_execz .LBB0_16
; %bb.15:
	v_mad_u64_u32 v[1:2], s[4:5], s18, v8, 0
	v_mad_u64_u32 v[10:11], s[4:5], s16, v6, 0
	;; [unrolled: 1-line block ×3, first 2 shown]
	v_mov_b32_e32 v2, v11
	v_mad_u64_u32 v[13:14], s[4:5], s17, v6, v[2:3]
	s_lshl_b64 s[4:5], s[10:11], 2
	s_add_u32 s14, s20, s4
	s_addc_u32 s4, s21, s5
	v_mov_b32_e32 v2, v12
	v_mov_b32_e32 v11, v13
	;; [unrolled: 1-line block ×3, first 2 shown]
	v_mad_u64_u32 v[12:13], s[4:5], s16, v9, 0
	v_lshlrev_b64 v[1:2], 2, v[1:2]
	v_add_co_u32_e64 v30, s[4:5], s14, v1
	v_addc_co_u32_e64 v31, s[4:5], v14, v2, s[4:5]
	v_lshlrev_b64 v[1:2], 2, v[10:11]
	v_mov_b32_e32 v10, v13
	v_mad_u64_u32 v[10:11], s[4:5], s17, v9, v[10:11]
	v_mad_u64_u32 v[14:15], s[4:5], s16, v7, 0
	v_mov_b32_e32 v13, v10
	v_add_co_u32_e64 v1, s[4:5], v30, v1
	v_lshlrev_b64 v[10:11], 2, v[12:13]
	v_mov_b32_e32 v12, v15
	v_addc_co_u32_e64 v2, s[4:5], v31, v2, s[4:5]
	v_mad_u64_u32 v[12:13], s[4:5], s17, v7, v[12:13]
	v_mad_u64_u32 v[16:17], s[4:5], s16, v5, 0
	v_add_co_u32_e64 v18, s[4:5], v30, v10
	v_mov_b32_e32 v15, v12
	v_mov_b32_e32 v12, v17
	v_addc_co_u32_e64 v19, s[4:5], v31, v11, s[4:5]
	v_mad_u64_u32 v[12:13], s[4:5], s17, v5, v[12:13]
	v_lshlrev_b64 v[10:11], 2, v[14:15]
	v_mad_u64_u32 v[13:14], s[4:5], s16, v4, 0
	v_add_co_u32_e64 v20, s[4:5], v30, v10
	v_mov_b32_e32 v17, v12
	v_mov_b32_e32 v12, v14
	v_addc_co_u32_e64 v21, s[4:5], v31, v11, s[4:5]
	v_mad_u64_u32 v[14:15], s[4:5], s17, v4, v[12:13]
	v_lshlrev_b64 v[10:11], 2, v[16:17]
	v_mad_u64_u32 v[15:16], s[4:5], s16, v3, 0
	v_add_co_u32_e64 v22, s[4:5], v30, v10
	v_mov_b32_e32 v12, v16
	v_addc_co_u32_e64 v23, s[4:5], v31, v11, s[4:5]
	v_lshlrev_b64 v[10:11], 2, v[13:14]
	v_mad_u64_u32 v[12:13], s[4:5], s17, v3, v[12:13]
	v_add_u32_e32 v17, 0x48, v6
	v_mad_u64_u32 v[13:14], s[4:5], s16, v17, 0
	v_add_co_u32_e64 v24, s[4:5], v30, v10
	v_mov_b32_e32 v16, v12
	v_mov_b32_e32 v12, v14
	v_addc_co_u32_e64 v25, s[4:5], v31, v11, s[4:5]
	v_lshlrev_b64 v[10:11], 2, v[15:16]
	v_mad_u64_u32 v[14:15], s[4:5], s17, v17, v[12:13]
	v_add_co_u32_e64 v26, s[4:5], v30, v10
	v_addc_co_u32_e64 v27, s[4:5], v31, v11, s[4:5]
	v_lshlrev_b64 v[10:11], 2, v[13:14]
	v_add_u32_e32 v14, 0x54, v6
	v_mad_u64_u32 v[12:13], s[4:5], s16, v14, 0
	v_add_co_u32_e64 v28, s[4:5], v30, v10
	v_mov_b32_e32 v10, v13
	v_addc_co_u32_e64 v29, s[4:5], v31, v11, s[4:5]
	v_mad_u64_u32 v[10:11], s[4:5], s17, v14, v[10:11]
	v_mov_b32_e32 v13, v10
	v_lshlrev_b64 v[10:11], 2, v[12:13]
	v_add_co_u32_e64 v30, s[4:5], v30, v10
	v_addc_co_u32_e64 v31, s[4:5], v31, v11, s[4:5]
	global_load_dword v10, v[1:2], off
	global_load_dword v11, v[18:19], off
	;; [unrolled: 1-line block ×8, first 2 shown]
.LBB0_16:
	s_or_b64 exec, exec, s[12:13]
	v_mov_b32_e32 v2, s25
	v_or_b32_e32 v1, s24, v8
	v_cmp_gt_u64_e64 s[4:5], s[8:9], v[1:2]
	s_xor_b64 s[12:13], vcc, -1
	s_and_b64 s[8:9], s[6:7], s[4:5]
	s_and_b64 s[8:9], s[12:13], s[8:9]
	s_and_saveexec_b64 s[14:15], s[8:9]
	s_cbranch_execz .LBB0_18
; %bb.17:
	s_waitcnt vmcnt(6)
	v_mad_u64_u32 v[10:11], s[8:9], s18, v8, 0
	s_waitcnt vmcnt(4)
	v_mad_u64_u32 v[12:13], s[8:9], s16, v6, 0
	v_mov_b32_e32 v2, v11
	s_waitcnt vmcnt(2)
	v_mad_u64_u32 v[14:15], s[8:9], s19, v8, v[2:3]
	v_mov_b32_e32 v2, v13
	s_waitcnt vmcnt(1)
	v_mad_u64_u32 v[15:16], s[8:9], s17, v6, v[2:3]
	s_lshl_b64 s[8:9], s[10:11], 2
	s_add_u32 s24, s20, s8
	s_addc_u32 s8, s21, s9
	v_mov_b32_e32 v11, v14
	v_mov_b32_e32 v13, v15
	v_mov_b32_e32 v2, s8
	v_mad_u64_u32 v[14:15], s[8:9], s16, v9, 0
	v_lshlrev_b64 v[10:11], 2, v[10:11]
	v_add_co_u32_e64 v30, s[8:9], s24, v10
	v_addc_co_u32_e64 v31, s[8:9], v2, v11, s[8:9]
	v_mov_b32_e32 v2, v15
	s_waitcnt vmcnt(0)
	v_mad_u64_u32 v[16:17], s[8:9], s16, v7, 0
	v_lshlrev_b64 v[10:11], 2, v[12:13]
	v_mad_u64_u32 v[12:13], s[8:9], s17, v9, v[2:3]
	v_add_co_u32_e64 v18, s[8:9], v30, v10
	v_mov_b32_e32 v2, v17
	v_addc_co_u32_e64 v19, s[8:9], v31, v11, s[8:9]
	v_mov_b32_e32 v15, v12
	v_mad_u64_u32 v[11:12], s[8:9], s17, v7, v[2:3]
	v_mad_u64_u32 v[12:13], s[8:9], s16, v5, 0
	v_lshlrev_b64 v[9:10], 2, v[14:15]
	v_mov_b32_e32 v17, v11
	v_add_co_u32_e64 v20, s[8:9], v30, v9
	v_mov_b32_e32 v2, v13
	v_addc_co_u32_e64 v21, s[8:9], v31, v10, s[8:9]
	v_mad_u64_u32 v[13:14], s[8:9], s17, v5, v[2:3]
	v_lshlrev_b64 v[9:10], 2, v[16:17]
	v_mad_u64_u32 v[14:15], s[8:9], s16, v4, 0
	v_add_co_u32_e64 v22, s[8:9], v30, v9
	v_addc_co_u32_e64 v23, s[8:9], v31, v10, s[8:9]
	v_lshlrev_b64 v[9:10], 2, v[12:13]
	v_mad_u64_u32 v[11:12], s[8:9], s16, v3, 0
	v_mov_b32_e32 v2, v15
	v_mad_u64_u32 v[4:5], s[8:9], s17, v4, v[2:3]
	v_add_co_u32_e64 v24, s[8:9], v30, v9
	v_mov_b32_e32 v2, v12
	v_add_u32_e32 v13, 0x48, v6
	v_addc_co_u32_e64 v25, s[8:9], v31, v10, s[8:9]
	v_mad_u64_u32 v[2:3], s[8:9], s17, v3, v[2:3]
	v_mad_u64_u32 v[9:10], s[8:9], s16, v13, 0
	v_mov_b32_e32 v15, v4
	v_lshlrev_b64 v[4:5], 2, v[14:15]
	v_mov_b32_e32 v12, v2
	v_add_co_u32_e64 v3, s[8:9], v30, v4
	v_mov_b32_e32 v2, v10
	v_addc_co_u32_e64 v4, s[8:9], v31, v5, s[8:9]
	v_mad_u64_u32 v[13:14], s[8:9], s17, v13, v[2:3]
	v_add_u32_e32 v5, 0x54, v6
	v_mad_u64_u32 v[14:15], s[8:9], s16, v5, 0
	v_lshlrev_b64 v[11:12], 2, v[11:12]
	v_mov_b32_e32 v10, v13
	v_add_co_u32_e64 v26, s[8:9], v30, v11
	v_mov_b32_e32 v2, v15
	v_addc_co_u32_e64 v27, s[8:9], v31, v12, s[8:9]
	v_mad_u64_u32 v[11:12], s[8:9], s17, v5, v[2:3]
	v_lshlrev_b64 v[9:10], 2, v[9:10]
	v_add_co_u32_e64 v28, s[8:9], v30, v9
	v_mov_b32_e32 v15, v11
	v_addc_co_u32_e64 v29, s[8:9], v31, v10, s[8:9]
	v_lshlrev_b64 v[9:10], 2, v[14:15]
	v_add_co_u32_e64 v30, s[8:9], v30, v9
	v_addc_co_u32_e64 v31, s[8:9], v31, v10, s[8:9]
	global_load_dword v10, v[18:19], off
	global_load_dword v11, v[20:21], off
	;; [unrolled: 1-line block ×8, first 2 shown]
.LBB0_18:
	s_or_b64 exec, exec, s[14:15]
	s_waitcnt vmcnt(3)
	v_pk_add_f16 v14, v10, v14 neg_lo:[0,1] neg_hi:[0,1]
	s_waitcnt vmcnt(1)
	v_pk_add_f16 v16, v12, v16 neg_lo:[0,1] neg_hi:[0,1]
	v_pk_add_f16 v5, v11, v15 neg_lo:[0,1] neg_hi:[0,1]
	s_waitcnt vmcnt(0)
	v_pk_add_f16 v9, v13, v17 neg_lo:[0,1] neg_hi:[0,1]
	v_pk_add_f16 v2, v14, v16 op_sel:[0,1] op_sel_hi:[1,0] neg_lo:[0,1] neg_hi:[0,1]
	v_pk_add_f16 v3, v14, v16 op_sel:[0,1] op_sel_hi:[1,0]
	s_mov_b32 s14, 0xffff
	v_bfi_b32 v15, s14, v2, v3
	v_pk_add_f16 v2, v5, v9 op_sel:[0,1] op_sel_hi:[1,0] neg_lo:[0,1] neg_hi:[0,1]
	v_pk_add_f16 v3, v5, v9 op_sel:[0,1] op_sel_hi:[1,0]
	v_bfi_b32 v17, s14, v2, v3
	s_movk_i32 s15, 0x39a8
	v_pk_mul_f16 v2, v17, s15 op_sel_hi:[1,0]
	v_pk_fma_f16 v3, v17, s15, v15 op_sel_hi:[1,0,1]
	v_pk_add_f16 v4, v3, v2 op_sel:[0,1] op_sel_hi:[1,0] neg_lo:[0,1] neg_hi:[0,1]
	v_pk_add_f16 v2, v3, v2 op_sel:[0,1] op_sel_hi:[1,0]
	v_bfi_b32 v4, s14, v4, v2
	v_pk_fma_f16 v3, v15, 2.0, v4 op_sel_hi:[1,0,1] neg_lo:[0,0,1] neg_hi:[0,0,1]
	v_lshlrev_b32_e32 v2, 2, v8
	s_and_saveexec_b64 s[8:9], s[6:7]
	s_cbranch_execz .LBB0_20
; %bb.19:
	v_pk_fma_f16 v17, v5, 2.0, v17 op_sel_hi:[1,0,1] neg_lo:[0,0,1] neg_hi:[0,0,1]
	v_pk_fma_f16 v10, v10, 2.0, v14 op_sel_hi:[1,0,1] neg_lo:[0,0,1] neg_hi:[0,0,1]
	;; [unrolled: 1-line block ×5, first 2 shown]
	v_pk_add_f16 v12, v10, v12 neg_lo:[0,1] neg_hi:[0,1]
	v_pk_add_f16 v9, v5, v9 neg_lo:[0,1] neg_hi:[0,1]
	v_pk_add_f16 v11, v12, v9 op_sel:[0,1] op_sel_hi:[1,0] neg_lo:[0,1] neg_hi:[0,1]
	v_pk_add_f16 v13, v12, v9 op_sel:[0,1] op_sel_hi:[1,0]
	v_pk_fma_f16 v10, v10, 2.0, v12 op_sel_hi:[1,0,1] neg_lo:[0,0,1] neg_hi:[0,0,1]
	v_pk_fma_f16 v5, v5, 2.0, v9 op_sel_hi:[1,0,1] neg_lo:[0,0,1] neg_hi:[0,0,1]
	;; [unrolled: 1-line block ×3, first 2 shown]
	v_bfi_b32 v11, s14, v11, v13
	v_pk_add_f16 v5, v10, v5 neg_lo:[0,1] neg_hi:[0,1]
	v_pk_mul_f16 v19, v17, s15 op_sel_hi:[1,0]
	v_pk_fma_f16 v17, v17, s15, v15 op_sel_hi:[1,0,1] neg_lo:[1,0,0] neg_hi:[1,0,0]
	v_pk_fma_f16 v13, v12, 2.0, v11 op_sel_hi:[1,0,1] neg_lo:[0,0,1] neg_hi:[0,0,1]
	v_lshrrev_b32_e32 v9, 16, v10
	v_lshrrev_b32_e32 v12, 16, v5
	v_pk_add_f16 v20, v17, v19 op_sel:[0,1] op_sel_hi:[1,0] neg_lo:[0,1] neg_hi:[0,1]
	v_pk_add_f16 v17, v17, v19 op_sel:[0,1] op_sel_hi:[1,0]
	v_fma_f16 v9, v9, 2.0, -v12
	v_lshlrev_b32_e32 v18, 8, v6
	v_bfi_b32 v17, s14, v20, v17
	v_lshlrev_b32_e32 v9, 16, v9
	v_fma_f16 v10, v10, 2.0, -v5
	v_add3_u32 v18, 0, v18, v2
	v_pk_fma_f16 v15, v15, 2.0, v17 op_sel_hi:[1,0,1] neg_lo:[0,0,1] neg_hi:[0,0,1]
	v_or_b32_sdwa v9, v9, v10 dst_sel:DWORD dst_unused:UNUSED_PAD src0_sel:DWORD src1_sel:WORD_0
	ds_write2_b32 v18, v13, v3 offset0:16 offset1:24
	ds_write2_b32 v18, v9, v15 offset1:8
	ds_write2_b32 v18, v5, v17 offset0:32 offset1:40
	ds_write2_b32 v18, v11, v4 offset0:48 offset1:56
.LBB0_20:
	s_or_b64 exec, exec, s[8:9]
	v_bfe_u32 v12, v0, 3, 3
	v_lshlrev_b32_e32 v4, 3, v12
	s_waitcnt lgkmcnt(0)
	s_barrier
	global_load_dwordx2 v[4:5], v4, s[22:23]
	v_lshlrev_b32_e32 v9, 5, v6
	v_add3_u32 v11, 0, v9, v2
	ds_read2st64_b32 v[9:10], v11 offset1:4
	ds_read_b32 v13, v11 offset:2048
	v_lshrrev_b32_e32 v0, 6, v0
	v_mul_u32_u24_e32 v0, 24, v0
	v_or_b32_e32 v0, v0, v12
	v_lshlrev_b32_e32 v0, 5, v0
	v_add3_u32 v14, 0, v0, v2
	s_waitcnt lgkmcnt(0)
	v_lshrrev_b32_e32 v0, 16, v13
	v_lshrrev_b32_e32 v2, 16, v9
	s_movk_i32 s6, 0x3aee
	s_mov_b32 s7, 0xbaee
	s_waitcnt vmcnt(0)
	s_barrier
	v_lshrrev_b32_e32 v12, 16, v4
	v_mul_f16_sdwa v15, v4, v10 dst_sel:DWORD dst_unused:UNUSED_PAD src0_sel:DWORD src1_sel:WORD_1
	v_mul_f16_sdwa v16, v5, v0 dst_sel:DWORD dst_unused:UNUSED_PAD src0_sel:WORD_1 src1_sel:DWORD
	v_mul_f16_sdwa v17, v5, v13 dst_sel:DWORD dst_unused:UNUSED_PAD src0_sel:WORD_1 src1_sel:DWORD
	v_mul_f16_sdwa v18, v12, v10 dst_sel:DWORD dst_unused:UNUSED_PAD src0_sel:DWORD src1_sel:WORD_1
	v_fma_f16 v12, v12, v10, v15
	v_fma_f16 v13, v5, v13, -v16
	v_fma_f16 v0, v5, v0, v17
	v_fma_f16 v5, v4, v10, -v18
	v_sub_f16_e32 v10, v12, v0
	v_add_f16_e32 v4, v12, v2
	v_add_f16_e32 v12, v12, v0
	;; [unrolled: 1-line block ×4, first 2 shown]
	v_fma_f16 v2, v12, -0.5, v2
	v_sub_f16_e32 v5, v5, v13
	v_add_f16_e32 v12, v15, v13
	v_fma_f16 v13, v16, -0.5, v9
	v_add_f16_e32 v4, v4, v0
	v_fma_f16 v0, v5, s7, v2
	v_fma_f16 v9, v5, s6, v2
	v_fma_f16 v5, v10, s6, v13
	v_fma_f16 v2, v10, s7, v13
	v_pack_b32_f16 v10, v12, v4
	v_pack_b32_f16 v13, v5, v0
	;; [unrolled: 1-line block ×3, first 2 shown]
	ds_write2st64_b32 v14, v10, v13 offset1:1
	ds_write_b32 v14, v15 offset:512
	s_waitcnt lgkmcnt(0)
	s_barrier
	s_waitcnt lgkmcnt(0)
                                        ; implicit-def: $vgpr10
	s_and_saveexec_b64 s[6:7], s[2:3]
	s_xor_b64 s[2:3], exec, s[6:7]
; %bb.21:
	v_lshlrev_b32_e32 v4, 16, v4
	v_or_b32_e32 v4, v4, v12
	v_lshrrev_b32_e32 v10, 16, v3
                                        ; implicit-def: $vgpr11
; %bb.22:
	s_andn2_saveexec_b64 s[2:3], s[2:3]
	s_cbranch_execz .LBB0_24
; %bb.23:
	ds_read2st64_b32 v[4:5], v11 offset1:3
	ds_read2st64_b32 v[2:3], v11 offset0:6 offset1:9
	s_waitcnt lgkmcnt(1)
	v_lshrrev_b32_e32 v0, 16, v5
	s_waitcnt lgkmcnt(0)
	v_lshrrev_b32_e32 v9, 16, v2
	v_lshrrev_b32_e32 v10, 16, v3
.LBB0_24:
	s_or_b64 exec, exec, s[2:3]
	s_mov_b32 s2, 0xaaaaaab
	v_mul_hi_u32 v11, v6, s2
	v_mul_lo_u32 v16, v1, 24
	s_add_i32 s2, 0, 0xc00
	v_lshrrev_b32_e32 v15, 16, v4
	v_mul_u32_u24_e32 v11, 24, v11
	v_sub_u32_e32 v14, v6, v11
	v_mul_u32_u24_e32 v11, 3, v14
	v_lshlrev_b32_e32 v11, 2, v11
	global_load_dwordx3 v[11:13], v11, s[22:23] offset:64
	v_mul_lo_u32 v14, v14, v1
	s_and_b64 s[6:7], s[0:1], vcc
	v_and_b32_e32 v1, 63, v14
	v_lshrrev_b32_e32 v17, 4, v14
	v_lshrrev_b32_e32 v18, 10, v14
	v_add_u32_e32 v14, v14, v16
	v_and_b32_e32 v19, 63, v14
	v_lshrrev_b32_e32 v20, 4, v14
	v_lshrrev_b32_e32 v21, 10, v14
	v_add_u32_e32 v14, v14, v16
	v_lshrrev_b32_e32 v23, 4, v14
	v_and_b32_e32 v17, 0xfc, v17
	v_and_b32_e32 v18, 0xfc, v18
	;; [unrolled: 1-line block ×6, first 2 shown]
	v_lshl_add_u32 v1, v1, 2, 0
	v_add_u32_e32 v17, s2, v17
	v_add_u32_e32 v18, s2, v18
	v_lshl_add_u32 v19, v19, 2, 0
	v_add_u32_e32 v20, s2, v20
	v_add_u32_e32 v21, s2, v21
	v_lshl_add_u32 v22, v22, 2, 0
	v_add_u32_e32 v23, s2, v23
	ds_read_b32 v1, v1 offset:3072
	ds_read_b32 v17, v17 offset:256
	ds_read_b32 v18, v18 offset:512
	ds_read_b32 v19, v19 offset:3072
	ds_read_b32 v20, v20 offset:256
	ds_read_b32 v21, v21 offset:512
	ds_read_b32 v22, v22 offset:3072
	ds_read_b32 v23, v23 offset:256
	s_waitcnt lgkmcnt(7)
	v_lshrrev_b32_e32 v24, 16, v1
	s_waitcnt lgkmcnt(6)
	v_mul_f16_sdwa v25, v24, v17 dst_sel:DWORD dst_unused:UNUSED_PAD src0_sel:DWORD src1_sel:WORD_1
	v_mul_f16_sdwa v26, v1, v17 dst_sel:DWORD dst_unused:UNUSED_PAD src0_sel:DWORD src1_sel:WORD_1
	s_waitcnt lgkmcnt(4)
	v_lshrrev_b32_e32 v27, 16, v19
	v_fma_f16 v1, v1, v17, -v25
	v_fma_f16 v17, v24, v17, v26
	s_waitcnt lgkmcnt(3)
	v_mul_f16_sdwa v24, v27, v20 dst_sel:DWORD dst_unused:UNUSED_PAD src0_sel:DWORD src1_sel:WORD_1
	v_mul_f16_sdwa v25, v19, v20 dst_sel:DWORD dst_unused:UNUSED_PAD src0_sel:DWORD src1_sel:WORD_1
	;; [unrolled: 1-line block ×4, first 2 shown]
	v_fma_f16 v19, v19, v20, -v24
	v_fma_f16 v20, v27, v20, v25
	v_fma_f16 v24, v18, v1, -v28
	v_fma_f16 v1, v18, v17, v29
	s_waitcnt lgkmcnt(2)
	v_mul_f16_sdwa v17, v20, v21 dst_sel:DWORD dst_unused:UNUSED_PAD src0_sel:DWORD src1_sel:WORD_1
	v_mul_f16_sdwa v18, v19, v21 dst_sel:DWORD dst_unused:UNUSED_PAD src0_sel:DWORD src1_sel:WORD_1
	v_fma_f16 v17, v21, v19, -v17
	v_fma_f16 v18, v21, v20, v18
	s_waitcnt lgkmcnt(1)
	v_lshrrev_b32_e32 v26, 16, v22
	s_waitcnt vmcnt(0)
	v_mul_f16_sdwa v19, v0, v11 dst_sel:DWORD dst_unused:UNUSED_PAD src0_sel:DWORD src1_sel:WORD_1
	v_mul_f16_sdwa v20, v5, v11 dst_sel:DWORD dst_unused:UNUSED_PAD src0_sel:DWORD src1_sel:WORD_1
	;; [unrolled: 1-line block ×6, first 2 shown]
	v_fma_f16 v5, v5, v11, -v19
	v_fma_f16 v0, v0, v11, v20
	v_fma_f16 v2, v2, v12, -v21
	v_fma_f16 v9, v9, v12, v25
	;; [unrolled: 2-line block ×3, first 2 shown]
	v_sub_f16_e32 v2, v4, v2
	v_sub_f16_e32 v9, v15, v9
	;; [unrolled: 1-line block ×4, first 2 shown]
	v_fma_f16 v4, v4, 2.0, -v2
	v_fma_f16 v11, v15, 2.0, -v9
	;; [unrolled: 1-line block ×4, first 2 shown]
	v_sub_f16_e32 v10, v2, v10
	v_add_f16_e32 v12, v9, v3
	v_sub_f16_e32 v5, v4, v5
	v_sub_f16_e32 v13, v11, v0
	v_fma_f16 v0, v2, 2.0, -v10
	v_fma_f16 v2, v9, 2.0, -v12
	v_fma_f16 v3, v4, 2.0, -v5
	v_fma_f16 v4, v11, 2.0, -v13
	v_mul_f16_e32 v11, v0, v18
	v_mul_f16_e32 v9, v2, v18
	;; [unrolled: 1-line block ×4, first 2 shown]
	v_fma_f16 v1, v2, v17, v11
	v_lshrrev_b32_e32 v11, 10, v14
	v_and_b32_e32 v11, 0xfc, v11
	v_add_u32_e32 v11, s2, v11
	ds_read_b32 v11, v11 offset:512
	v_add_u32_e32 v14, v14, v16
	v_fma_f16 v0, v0, v17, -v9
	v_fma_f16 v2, v3, v24, -v15
	s_waitcnt lgkmcnt(1)
	v_mul_f16_sdwa v9, v22, v23 dst_sel:DWORD dst_unused:UNUSED_PAD src0_sel:DWORD src1_sel:WORD_1
	v_and_b32_e32 v15, 63, v14
	v_lshrrev_b32_e32 v16, 4, v14
	v_lshrrev_b32_e32 v14, 10, v14
	v_fma_f16 v3, v4, v24, v18
	v_mul_f16_sdwa v4, v26, v23 dst_sel:DWORD dst_unused:UNUSED_PAD src0_sel:DWORD src1_sel:WORD_1
	v_fma_f16 v9, v26, v23, v9
	v_and_b32_e32 v16, 0xfc, v16
	v_and_b32_e32 v14, 0xfc, v14
	v_fma_f16 v4, v22, v23, -v4
	v_lshl_add_u32 v15, v15, 2, 0
	v_add_u32_e32 v16, s2, v16
	v_add_u32_e32 v14, s2, v14
	s_waitcnt lgkmcnt(0)
	v_mul_f16_sdwa v17, v9, v11 dst_sel:DWORD dst_unused:UNUSED_PAD src0_sel:DWORD src1_sel:WORD_1
	ds_read_b32 v15, v15 offset:3072
	ds_read_b32 v16, v16 offset:256
	;; [unrolled: 1-line block ×3, first 2 shown]
	v_fma_f16 v17, v11, v4, -v17
	v_mul_f16_sdwa v4, v4, v11 dst_sel:DWORD dst_unused:UNUSED_PAD src0_sel:DWORD src1_sel:WORD_1
	v_fma_f16 v9, v11, v9, v4
	v_mul_f16_e32 v4, v13, v9
	v_fma_f16 v4, v5, v17, -v4
	v_mul_f16_e32 v5, v5, v9
	v_fma_f16 v5, v13, v17, v5
	s_waitcnt lgkmcnt(2)
	v_lshrrev_b32_e32 v9, 16, v15
	s_waitcnt lgkmcnt(1)
	v_mul_f16_sdwa v13, v15, v16 dst_sel:DWORD dst_unused:UNUSED_PAD src0_sel:DWORD src1_sel:WORD_1
	v_mul_f16_sdwa v11, v9, v16 dst_sel:DWORD dst_unused:UNUSED_PAD src0_sel:DWORD src1_sel:WORD_1
	v_fma_f16 v9, v9, v16, v13
	v_fma_f16 v11, v15, v16, -v11
	s_waitcnt lgkmcnt(0)
	v_mul_f16_sdwa v13, v9, v14 dst_sel:DWORD dst_unused:UNUSED_PAD src0_sel:DWORD src1_sel:WORD_1
	v_fma_f16 v13, v14, v11, -v13
	v_mul_f16_sdwa v11, v11, v14 dst_sel:DWORD dst_unused:UNUSED_PAD src0_sel:DWORD src1_sel:WORD_1
	v_fma_f16 v11, v14, v9, v11
	v_mul_f16_e32 v9, v12, v11
	v_fma_f16 v9, v10, v13, -v9
	v_mul_f16_e32 v10, v10, v11
	v_fma_f16 v10, v12, v13, v10
	v_add_u32_e32 v11, 48, v6
	s_and_saveexec_b64 s[2:3], s[6:7]
	s_cbranch_execz .LBB0_26
; %bb.25:
	v_mad_u64_u32 v[12:13], s[6:7], s18, v8, 0
	v_mad_u64_u32 v[14:15], s[6:7], s16, v6, 0
	s_mov_b32 s8, 0x5040100
	v_add_u32_e32 v21, 0x48, v6
	v_mad_u64_u32 v[16:17], s[6:7], s19, v8, v[13:14]
	v_mov_b32_e32 v13, v15
	v_mad_u64_u32 v[17:18], s[6:7], s17, v6, v[13:14]
	v_mov_b32_e32 v13, v16
	s_lshl_b64 s[6:7], s[10:11], 2
	s_add_u32 s6, s20, s6
	v_lshlrev_b64 v[12:13], 2, v[12:13]
	s_addc_u32 s7, s21, s7
	v_mov_b32_e32 v15, v17
	v_mov_b32_e32 v16, s7
	v_add_co_u32_e32 v18, vcc, s6, v12
	v_addc_co_u32_e32 v19, vcc, v16, v13, vcc
	v_lshlrev_b64 v[12:13], 2, v[14:15]
	v_mad_u64_u32 v[14:15], s[6:7], s16, v7, 0
	v_add_co_u32_e32 v12, vcc, v18, v12
	v_mad_u64_u32 v[15:16], s[6:7], s17, v7, v[15:16]
	v_addc_co_u32_e32 v13, vcc, v19, v13, vcc
	v_perm_b32 v16, v3, v2, s8
	global_store_dword v[12:13], v16, off
	v_lshlrev_b64 v[12:13], 2, v[14:15]
	v_mad_u64_u32 v[14:15], s[6:7], s16, v11, 0
	v_add_co_u32_e32 v12, vcc, v18, v12
	v_mad_u64_u32 v[15:16], s[6:7], s17, v11, v[15:16]
	v_mad_u64_u32 v[16:17], s[6:7], s16, v21, 0
	v_addc_co_u32_e32 v13, vcc, v19, v13, vcc
	v_perm_b32 v20, v1, v0, s8
	global_store_dword v[12:13], v20, off
	v_lshlrev_b64 v[12:13], 2, v[14:15]
	v_mov_b32_e32 v14, v17
	v_mad_u64_u32 v[14:15], s[6:7], s17, v21, v[14:15]
	v_add_co_u32_e32 v12, vcc, v18, v12
	v_addc_co_u32_e32 v13, vcc, v19, v13, vcc
	v_perm_b32 v15, v5, v4, s8
	v_mov_b32_e32 v17, v14
	global_store_dword v[12:13], v15, off
	v_lshlrev_b64 v[12:13], 2, v[16:17]
	v_perm_b32 v14, v10, v9, s8
	v_add_co_u32_e32 v12, vcc, v18, v12
	v_addc_co_u32_e32 v13, vcc, v19, v13, vcc
	global_store_dword v[12:13], v14, off
.LBB0_26:
	s_or_b64 exec, exec, s[2:3]
	s_and_b64 s[0:1], s[0:1], s[4:5]
	s_and_b64 s[0:1], s[12:13], s[0:1]
	s_and_saveexec_b64 s[2:3], s[0:1]
	s_cbranch_execz .LBB0_28
; %bb.27:
	v_mad_u64_u32 v[12:13], s[0:1], s18, v8, 0
	v_mad_u64_u32 v[14:15], s[0:1], s16, v6, 0
	s_mov_b32 s2, 0x5040100
	v_perm_b32 v2, v3, v2, s2
	v_mad_u64_u32 v[16:17], s[0:1], s19, v8, v[13:14]
	v_mov_b32_e32 v8, v15
	v_mad_u64_u32 v[17:18], s[0:1], s17, v6, v[8:9]
	v_mov_b32_e32 v13, v16
	s_lshl_b64 s[0:1], s[10:11], 2
	s_add_u32 s0, s20, s0
	v_lshlrev_b64 v[12:13], 2, v[12:13]
	s_addc_u32 s1, s21, s1
	v_mov_b32_e32 v15, v17
	v_mov_b32_e32 v8, s1
	v_add_co_u32_e32 v16, vcc, s0, v12
	v_addc_co_u32_e32 v17, vcc, v8, v13, vcc
	v_lshlrev_b64 v[12:13], 2, v[14:15]
	v_mad_u64_u32 v[14:15], s[0:1], s16, v7, 0
	v_add_co_u32_e32 v12, vcc, v16, v12
	v_mov_b32_e32 v8, v15
	v_mad_u64_u32 v[7:8], s[0:1], s17, v7, v[8:9]
	v_addc_co_u32_e32 v13, vcc, v17, v13, vcc
	v_mov_b32_e32 v15, v7
	v_mad_u64_u32 v[7:8], s[0:1], s16, v11, 0
	global_store_dword v[12:13], v2, off
	v_perm_b32 v13, v1, v0, s2
	v_mov_b32_e32 v0, v8
	v_add_u32_e32 v6, 0x48, v6
	v_lshlrev_b64 v[2:3], 2, v[14:15]
	v_mad_u64_u32 v[0:1], s[0:1], s17, v11, v[0:1]
	v_mad_u64_u32 v[11:12], s[0:1], s16, v6, 0
	v_add_co_u32_e32 v2, vcc, v16, v2
	v_addc_co_u32_e32 v3, vcc, v17, v3, vcc
	global_store_dword v[2:3], v13, off
	v_mov_b32_e32 v2, v12
	v_mov_b32_e32 v8, v0
	v_mad_u64_u32 v[2:3], s[0:1], s17, v6, v[2:3]
	v_lshlrev_b64 v[0:1], 2, v[7:8]
	v_perm_b32 v3, v5, v4, s2
	v_add_co_u32_e32 v0, vcc, v16, v0
	v_addc_co_u32_e32 v1, vcc, v17, v1, vcc
	v_mov_b32_e32 v12, v2
	global_store_dword v[0:1], v3, off
	v_lshlrev_b64 v[0:1], 2, v[11:12]
	v_perm_b32 v2, v10, v9, s2
	v_add_co_u32_e32 v0, vcc, v16, v0
	v_addc_co_u32_e32 v1, vcc, v17, v1, vcc
	global_store_dword v[0:1], v2, off
.LBB0_28:
	s_endpgm
	.section	.rodata,"a",@progbits
	.p2align	6, 0x0
	.amdhsa_kernel fft_rtc_fwd_len96_factors_8_3_4_wgs_256_tpt_32_half_ip_CI_sbcc_twdbase6_3step_dirReg
		.amdhsa_group_segment_fixed_size 0
		.amdhsa_private_segment_fixed_size 0
		.amdhsa_kernarg_size 96
		.amdhsa_user_sgpr_count 6
		.amdhsa_user_sgpr_private_segment_buffer 1
		.amdhsa_user_sgpr_dispatch_ptr 0
		.amdhsa_user_sgpr_queue_ptr 0
		.amdhsa_user_sgpr_kernarg_segment_ptr 1
		.amdhsa_user_sgpr_dispatch_id 0
		.amdhsa_user_sgpr_flat_scratch_init 0
		.amdhsa_user_sgpr_private_segment_size 0
		.amdhsa_uses_dynamic_stack 0
		.amdhsa_system_sgpr_private_segment_wavefront_offset 0
		.amdhsa_system_sgpr_workgroup_id_x 1
		.amdhsa_system_sgpr_workgroup_id_y 0
		.amdhsa_system_sgpr_workgroup_id_z 0
		.amdhsa_system_sgpr_workgroup_info 0
		.amdhsa_system_vgpr_workitem_id 0
		.amdhsa_next_free_vgpr 32
		.amdhsa_next_free_sgpr 47
		.amdhsa_reserve_vcc 1
		.amdhsa_reserve_flat_scratch 0
		.amdhsa_float_round_mode_32 0
		.amdhsa_float_round_mode_16_64 0
		.amdhsa_float_denorm_mode_32 3
		.amdhsa_float_denorm_mode_16_64 3
		.amdhsa_dx10_clamp 1
		.amdhsa_ieee_mode 1
		.amdhsa_fp16_overflow 0
		.amdhsa_exception_fp_ieee_invalid_op 0
		.amdhsa_exception_fp_denorm_src 0
		.amdhsa_exception_fp_ieee_div_zero 0
		.amdhsa_exception_fp_ieee_overflow 0
		.amdhsa_exception_fp_ieee_underflow 0
		.amdhsa_exception_fp_ieee_inexact 0
		.amdhsa_exception_int_div_zero 0
	.end_amdhsa_kernel
	.text
.Lfunc_end0:
	.size	fft_rtc_fwd_len96_factors_8_3_4_wgs_256_tpt_32_half_ip_CI_sbcc_twdbase6_3step_dirReg, .Lfunc_end0-fft_rtc_fwd_len96_factors_8_3_4_wgs_256_tpt_32_half_ip_CI_sbcc_twdbase6_3step_dirReg
                                        ; -- End function
	.section	.AMDGPU.csdata,"",@progbits
; Kernel info:
; codeLenInByte = 4808
; NumSgprs: 51
; NumVgprs: 32
; ScratchSize: 0
; MemoryBound: 0
; FloatMode: 240
; IeeeMode: 1
; LDSByteSize: 0 bytes/workgroup (compile time only)
; SGPRBlocks: 6
; VGPRBlocks: 7
; NumSGPRsForWavesPerEU: 51
; NumVGPRsForWavesPerEU: 32
; Occupancy: 8
; WaveLimiterHint : 1
; COMPUTE_PGM_RSRC2:SCRATCH_EN: 0
; COMPUTE_PGM_RSRC2:USER_SGPR: 6
; COMPUTE_PGM_RSRC2:TRAP_HANDLER: 0
; COMPUTE_PGM_RSRC2:TGID_X_EN: 1
; COMPUTE_PGM_RSRC2:TGID_Y_EN: 0
; COMPUTE_PGM_RSRC2:TGID_Z_EN: 0
; COMPUTE_PGM_RSRC2:TIDIG_COMP_CNT: 0
	.type	__hip_cuid_2af5178f8f19684d,@object ; @__hip_cuid_2af5178f8f19684d
	.section	.bss,"aw",@nobits
	.globl	__hip_cuid_2af5178f8f19684d
__hip_cuid_2af5178f8f19684d:
	.byte	0                               ; 0x0
	.size	__hip_cuid_2af5178f8f19684d, 1

	.ident	"AMD clang version 19.0.0git (https://github.com/RadeonOpenCompute/llvm-project roc-6.4.0 25133 c7fe45cf4b819c5991fe208aaa96edf142730f1d)"
	.section	".note.GNU-stack","",@progbits
	.addrsig
	.addrsig_sym __hip_cuid_2af5178f8f19684d
	.amdgpu_metadata
---
amdhsa.kernels:
  - .args:
      - .actual_access:  read_only
        .address_space:  global
        .offset:         0
        .size:           8
        .value_kind:     global_buffer
      - .address_space:  global
        .offset:         8
        .size:           8
        .value_kind:     global_buffer
      - .offset:         16
        .size:           8
        .value_kind:     by_value
      - .actual_access:  read_only
        .address_space:  global
        .offset:         24
        .size:           8
        .value_kind:     global_buffer
      - .actual_access:  read_only
        .address_space:  global
        .offset:         32
        .size:           8
        .value_kind:     global_buffer
      - .offset:         40
        .size:           8
        .value_kind:     by_value
      - .actual_access:  read_only
        .address_space:  global
        .offset:         48
        .size:           8
        .value_kind:     global_buffer
      - .actual_access:  read_only
        .address_space:  global
        .offset:         56
        .size:           8
        .value_kind:     global_buffer
      - .offset:         64
        .size:           4
        .value_kind:     by_value
      - .actual_access:  read_only
        .address_space:  global
        .offset:         72
        .size:           8
        .value_kind:     global_buffer
      - .actual_access:  read_only
        .address_space:  global
        .offset:         80
        .size:           8
        .value_kind:     global_buffer
      - .address_space:  global
        .offset:         88
        .size:           8
        .value_kind:     global_buffer
    .group_segment_fixed_size: 0
    .kernarg_segment_align: 8
    .kernarg_segment_size: 96
    .language:       OpenCL C
    .language_version:
      - 2
      - 0
    .max_flat_workgroup_size: 256
    .name:           fft_rtc_fwd_len96_factors_8_3_4_wgs_256_tpt_32_half_ip_CI_sbcc_twdbase6_3step_dirReg
    .private_segment_fixed_size: 0
    .sgpr_count:     51
    .sgpr_spill_count: 0
    .symbol:         fft_rtc_fwd_len96_factors_8_3_4_wgs_256_tpt_32_half_ip_CI_sbcc_twdbase6_3step_dirReg.kd
    .uniform_work_group_size: 1
    .uses_dynamic_stack: false
    .vgpr_count:     32
    .vgpr_spill_count: 0
    .wavefront_size: 64
amdhsa.target:   amdgcn-amd-amdhsa--gfx906
amdhsa.version:
  - 1
  - 2
...

	.end_amdgpu_metadata
